;; amdgpu-corpus repo=ROCm/rocFFT kind=compiled arch=gfx1030 opt=O3
	.text
	.amdgcn_target "amdgcn-amd-amdhsa--gfx1030"
	.amdhsa_code_object_version 6
	.protected	fft_rtc_fwd_len880_factors_2_2_2_2_11_5_wgs_176_tpt_88_halfLds_half_op_CI_CI_sbrr_dirReg ; -- Begin function fft_rtc_fwd_len880_factors_2_2_2_2_11_5_wgs_176_tpt_88_halfLds_half_op_CI_CI_sbrr_dirReg
	.globl	fft_rtc_fwd_len880_factors_2_2_2_2_11_5_wgs_176_tpt_88_halfLds_half_op_CI_CI_sbrr_dirReg
	.p2align	8
	.type	fft_rtc_fwd_len880_factors_2_2_2_2_11_5_wgs_176_tpt_88_halfLds_half_op_CI_CI_sbrr_dirReg,@function
fft_rtc_fwd_len880_factors_2_2_2_2_11_5_wgs_176_tpt_88_halfLds_half_op_CI_CI_sbrr_dirReg: ; @fft_rtc_fwd_len880_factors_2_2_2_2_11_5_wgs_176_tpt_88_halfLds_half_op_CI_CI_sbrr_dirReg
; %bb.0:
	s_clause 0x2
	s_load_dwordx4 s[16:19], s[4:5], 0x18
	s_load_dwordx4 s[12:15], s[4:5], 0x0
	;; [unrolled: 1-line block ×3, first 2 shown]
	v_mul_u32_u24_e32 v1, 0x2e9, v0
	v_mov_b32_e32 v7, 0
	v_mov_b32_e32 v5, 0
	;; [unrolled: 1-line block ×3, first 2 shown]
	s_waitcnt lgkmcnt(0)
	s_load_dwordx2 s[20:21], s[16:17], 0x0
	s_load_dwordx2 s[2:3], s[18:19], 0x0
	v_lshrrev_b32_e32 v11, 16, v1
	v_cmp_lt_u64_e64 s0, s[14:15], 2
	v_mov_b32_e32 v10, v7
	v_lshl_add_u32 v9, s6, 1, v11
	s_and_b32 vcc_lo, exec_lo, s0
	s_cbranch_vccnz .LBB0_8
; %bb.1:
	s_load_dwordx2 s[0:1], s[4:5], 0x10
	v_mov_b32_e32 v5, 0
	v_mov_b32_e32 v6, 0
	s_add_u32 s6, s18, 8
	s_addc_u32 s7, s19, 0
	v_mov_b32_e32 v1, v5
	s_add_u32 s22, s16, 8
	v_mov_b32_e32 v2, v6
	s_addc_u32 s23, s17, 0
	s_mov_b64 s[26:27], 1
	s_waitcnt lgkmcnt(0)
	s_add_u32 s24, s0, 8
	s_addc_u32 s25, s1, 0
.LBB0_2:                                ; =>This Inner Loop Header: Depth=1
	s_load_dwordx2 s[28:29], s[24:25], 0x0
                                        ; implicit-def: $vgpr3_vgpr4
	s_mov_b32 s0, exec_lo
	s_waitcnt lgkmcnt(0)
	v_or_b32_e32 v8, s29, v10
	v_cmpx_ne_u64_e32 0, v[7:8]
	s_xor_b32 s1, exec_lo, s0
	s_cbranch_execz .LBB0_4
; %bb.3:                                ;   in Loop: Header=BB0_2 Depth=1
	v_cvt_f32_u32_e32 v3, s28
	v_cvt_f32_u32_e32 v4, s29
	s_sub_u32 s0, 0, s28
	s_subb_u32 s30, 0, s29
	v_fmac_f32_e32 v3, 0x4f800000, v4
	v_rcp_f32_e32 v3, v3
	v_mul_f32_e32 v3, 0x5f7ffffc, v3
	v_mul_f32_e32 v4, 0x2f800000, v3
	v_trunc_f32_e32 v4, v4
	v_fmac_f32_e32 v3, 0xcf800000, v4
	v_cvt_u32_f32_e32 v4, v4
	v_cvt_u32_f32_e32 v3, v3
	v_mul_lo_u32 v8, s0, v4
	v_mul_hi_u32 v12, s0, v3
	v_mul_lo_u32 v13, s30, v3
	v_add_nc_u32_e32 v8, v12, v8
	v_mul_lo_u32 v12, s0, v3
	v_add_nc_u32_e32 v8, v8, v13
	v_mul_hi_u32 v13, v3, v12
	v_mul_lo_u32 v14, v3, v8
	v_mul_hi_u32 v15, v3, v8
	v_mul_hi_u32 v16, v4, v12
	v_mul_lo_u32 v12, v4, v12
	v_mul_hi_u32 v17, v4, v8
	v_mul_lo_u32 v8, v4, v8
	v_add_co_u32 v13, vcc_lo, v13, v14
	v_add_co_ci_u32_e32 v14, vcc_lo, 0, v15, vcc_lo
	v_add_co_u32 v12, vcc_lo, v13, v12
	v_add_co_ci_u32_e32 v12, vcc_lo, v14, v16, vcc_lo
	v_add_co_ci_u32_e32 v13, vcc_lo, 0, v17, vcc_lo
	v_add_co_u32 v8, vcc_lo, v12, v8
	v_add_co_ci_u32_e32 v12, vcc_lo, 0, v13, vcc_lo
	v_add_co_u32 v3, vcc_lo, v3, v8
	v_add_co_ci_u32_e32 v4, vcc_lo, v4, v12, vcc_lo
	v_mul_hi_u32 v8, s0, v3
	v_mul_lo_u32 v13, s30, v3
	v_mul_lo_u32 v12, s0, v4
	v_add_nc_u32_e32 v8, v8, v12
	v_mul_lo_u32 v12, s0, v3
	v_add_nc_u32_e32 v8, v8, v13
	v_mul_hi_u32 v13, v3, v12
	v_mul_lo_u32 v14, v3, v8
	v_mul_hi_u32 v15, v3, v8
	v_mul_hi_u32 v16, v4, v12
	v_mul_lo_u32 v12, v4, v12
	v_mul_hi_u32 v17, v4, v8
	v_mul_lo_u32 v8, v4, v8
	v_add_co_u32 v13, vcc_lo, v13, v14
	v_add_co_ci_u32_e32 v14, vcc_lo, 0, v15, vcc_lo
	v_add_co_u32 v12, vcc_lo, v13, v12
	v_add_co_ci_u32_e32 v12, vcc_lo, v14, v16, vcc_lo
	v_add_co_ci_u32_e32 v13, vcc_lo, 0, v17, vcc_lo
	v_add_co_u32 v8, vcc_lo, v12, v8
	v_add_co_ci_u32_e32 v12, vcc_lo, 0, v13, vcc_lo
	v_add_co_u32 v8, vcc_lo, v3, v8
	v_add_co_ci_u32_e32 v14, vcc_lo, v4, v12, vcc_lo
	v_mul_hi_u32 v16, v9, v8
	v_mad_u64_u32 v[12:13], null, v10, v8, 0
	v_mad_u64_u32 v[3:4], null, v9, v14, 0
	;; [unrolled: 1-line block ×3, first 2 shown]
	v_add_co_u32 v3, vcc_lo, v16, v3
	v_add_co_ci_u32_e32 v4, vcc_lo, 0, v4, vcc_lo
	v_add_co_u32 v3, vcc_lo, v3, v12
	v_add_co_ci_u32_e32 v3, vcc_lo, v4, v13, vcc_lo
	v_add_co_ci_u32_e32 v4, vcc_lo, 0, v15, vcc_lo
	v_add_co_u32 v8, vcc_lo, v3, v14
	v_add_co_ci_u32_e32 v12, vcc_lo, 0, v4, vcc_lo
	v_mul_lo_u32 v13, s29, v8
	v_mad_u64_u32 v[3:4], null, s28, v8, 0
	v_mul_lo_u32 v14, s28, v12
	v_sub_co_u32 v3, vcc_lo, v9, v3
	v_add3_u32 v4, v4, v14, v13
	v_sub_nc_u32_e32 v13, v10, v4
	v_subrev_co_ci_u32_e64 v13, s0, s29, v13, vcc_lo
	v_add_co_u32 v14, s0, v8, 2
	v_add_co_ci_u32_e64 v15, s0, 0, v12, s0
	v_sub_co_u32 v16, s0, v3, s28
	v_sub_co_ci_u32_e32 v4, vcc_lo, v10, v4, vcc_lo
	v_subrev_co_ci_u32_e64 v13, s0, 0, v13, s0
	v_cmp_le_u32_e32 vcc_lo, s28, v16
	v_cmp_eq_u32_e64 s0, s29, v4
	v_cndmask_b32_e64 v16, 0, -1, vcc_lo
	v_cmp_le_u32_e32 vcc_lo, s29, v13
	v_cndmask_b32_e64 v17, 0, -1, vcc_lo
	v_cmp_le_u32_e32 vcc_lo, s28, v3
	v_cndmask_b32_e64 v3, 0, -1, vcc_lo
	v_cmp_le_u32_e32 vcc_lo, s29, v4
	v_cndmask_b32_e64 v18, 0, -1, vcc_lo
	v_cmp_eq_u32_e32 vcc_lo, s29, v13
	v_cndmask_b32_e64 v3, v18, v3, s0
	v_cndmask_b32_e32 v13, v17, v16, vcc_lo
	v_add_co_u32 v16, vcc_lo, v8, 1
	v_add_co_ci_u32_e32 v17, vcc_lo, 0, v12, vcc_lo
	v_cmp_ne_u32_e32 vcc_lo, 0, v13
	v_cndmask_b32_e32 v4, v17, v15, vcc_lo
	v_cndmask_b32_e32 v13, v16, v14, vcc_lo
	v_cmp_ne_u32_e32 vcc_lo, 0, v3
	v_cndmask_b32_e32 v4, v12, v4, vcc_lo
	v_cndmask_b32_e32 v3, v8, v13, vcc_lo
.LBB0_4:                                ;   in Loop: Header=BB0_2 Depth=1
	s_andn2_saveexec_b32 s0, s1
	s_cbranch_execz .LBB0_6
; %bb.5:                                ;   in Loop: Header=BB0_2 Depth=1
	v_cvt_f32_u32_e32 v3, s28
	s_sub_i32 s1, 0, s28
	v_rcp_iflag_f32_e32 v3, v3
	v_mul_f32_e32 v3, 0x4f7ffffe, v3
	v_cvt_u32_f32_e32 v3, v3
	v_mul_lo_u32 v4, s1, v3
	v_mul_hi_u32 v4, v3, v4
	v_add_nc_u32_e32 v3, v3, v4
	v_mul_hi_u32 v3, v9, v3
	v_mul_lo_u32 v4, v3, s28
	v_add_nc_u32_e32 v8, 1, v3
	v_sub_nc_u32_e32 v4, v9, v4
	v_subrev_nc_u32_e32 v12, s28, v4
	v_cmp_le_u32_e32 vcc_lo, s28, v4
	v_cndmask_b32_e32 v4, v4, v12, vcc_lo
	v_cndmask_b32_e32 v3, v3, v8, vcc_lo
	v_cmp_le_u32_e32 vcc_lo, s28, v4
	v_add_nc_u32_e32 v8, 1, v3
	v_mov_b32_e32 v4, v7
	v_cndmask_b32_e32 v3, v3, v8, vcc_lo
.LBB0_6:                                ;   in Loop: Header=BB0_2 Depth=1
	s_or_b32 exec_lo, exec_lo, s0
	v_mul_lo_u32 v8, v4, s28
	v_mul_lo_u32 v14, v3, s29
	s_load_dwordx2 s[0:1], s[22:23], 0x0
	v_mad_u64_u32 v[12:13], null, v3, s28, 0
	s_load_dwordx2 s[28:29], s[6:7], 0x0
	s_add_u32 s26, s26, 1
	s_addc_u32 s27, s27, 0
	s_add_u32 s6, s6, 8
	s_addc_u32 s7, s7, 0
	s_add_u32 s22, s22, 8
	v_add3_u32 v8, v13, v14, v8
	v_sub_co_u32 v9, vcc_lo, v9, v12
	s_addc_u32 s23, s23, 0
	s_add_u32 s24, s24, 8
	v_sub_co_ci_u32_e32 v8, vcc_lo, v10, v8, vcc_lo
	s_addc_u32 s25, s25, 0
	s_waitcnt lgkmcnt(0)
	v_mul_lo_u32 v10, s0, v8
	v_mul_lo_u32 v12, s1, v9
	v_mad_u64_u32 v[5:6], null, s0, v9, v[5:6]
	v_mul_lo_u32 v8, s28, v8
	v_mul_lo_u32 v13, s29, v9
	v_mad_u64_u32 v[1:2], null, s28, v9, v[1:2]
	v_cmp_ge_u64_e64 s0, s[26:27], s[14:15]
	v_add3_u32 v6, v12, v6, v10
	v_add3_u32 v2, v13, v2, v8
	s_and_b32 vcc_lo, exec_lo, s0
	s_cbranch_vccnz .LBB0_9
; %bb.7:                                ;   in Loop: Header=BB0_2 Depth=1
	v_mov_b32_e32 v10, v4
	v_mov_b32_e32 v9, v3
	s_branch .LBB0_2
.LBB0_8:
	v_mov_b32_e32 v1, v5
	v_mov_b32_e32 v3, v9
	;; [unrolled: 1-line block ×4, first 2 shown]
.LBB0_9:
	s_load_dwordx2 s[0:1], s[4:5], 0x28
	v_mul_hi_u32 v24, 0x2e8ba2f, v0
	s_lshl_b64 s[6:7], s[14:15], 3
                                        ; implicit-def: $sgpr14
                                        ; implicit-def: $vgpr7
                                        ; implicit-def: $vgpr8
                                        ; implicit-def: $vgpr9
                                        ; implicit-def: $vgpr10
                                        ; implicit-def: $vgpr18
	s_add_u32 s4, s18, s6
	s_addc_u32 s5, s19, s7
	s_waitcnt lgkmcnt(0)
	v_cmp_gt_u64_e32 vcc_lo, s[0:1], v[3:4]
	v_cmp_le_u64_e64 s0, s[0:1], v[3:4]
	s_and_saveexec_b32 s1, s0
	s_xor_b32 s0, exec_lo, s1
; %bb.10:
	v_mul_u32_u24_e32 v5, 0x58, v24
	s_mov_b32 s14, 0
                                        ; implicit-def: $vgpr24
	v_sub_nc_u32_e32 v7, v0, v5
                                        ; implicit-def: $vgpr0
                                        ; implicit-def: $vgpr5_vgpr6
	v_add_nc_u32_e32 v8, 0x58, v7
	v_add_nc_u32_e32 v9, 0xb0, v7
	;; [unrolled: 1-line block ×4, first 2 shown]
; %bb.11:
	s_or_saveexec_b32 s1, s0
	v_mov_b32_e32 v17, s14
	v_mov_b32_e32 v22, s14
	v_mov_b32_e32 v20, s14
	v_mov_b32_e32 v15, s14
	v_mov_b32_e32 v14, s14
                                        ; implicit-def: $vgpr28
                                        ; implicit-def: $vgpr12
                                        ; implicit-def: $vgpr26
                                        ; implicit-def: $vgpr13
                                        ; implicit-def: $vgpr27
                                        ; implicit-def: $vgpr16
                                        ; implicit-def: $vgpr25
                                        ; implicit-def: $vgpr19
                                        ; implicit-def: $vgpr23
                                        ; implicit-def: $vgpr21
	s_xor_b32 exec_lo, exec_lo, s1
	s_cbranch_execz .LBB0_13
; %bb.12:
	s_add_u32 s6, s16, s6
	s_addc_u32 s7, s17, s7
	v_mul_u32_u24_e32 v7, 0x58, v24
	s_load_dwordx2 s[6:7], s[6:7], 0x0
	v_lshlrev_b64 v[5:6], 2, v[5:6]
	v_sub_nc_u32_e32 v7, v0, v7
	v_mad_u64_u32 v[12:13], null, s20, v7, 0
	v_add_nc_u32_e32 v24, 0x1b8, v7
	v_add_nc_u32_e32 v8, 0x58, v7
	;; [unrolled: 1-line block ×4, first 2 shown]
	v_mad_u64_u32 v[14:15], null, s20, v24, 0
	v_mov_b32_e32 v0, v13
	v_mad_u64_u32 v[16:17], null, s20, v8, 0
	s_waitcnt lgkmcnt(0)
	v_mul_lo_u32 v13, s7, v3
	v_mul_lo_u32 v25, s6, v4
	v_mad_u64_u32 v[18:19], null, s6, v3, 0
	v_mad_u64_u32 v[22:23], null, s21, v7, v[0:1]
	;; [unrolled: 1-line block ×3, first 2 shown]
	v_mov_b32_e32 v0, v15
	v_mov_b32_e32 v10, v17
	v_add3_u32 v19, v19, v25, v13
	v_mov_b32_e32 v13, v22
	v_mad_u64_u32 v[23:24], null, s21, v24, v[0:1]
	v_lshlrev_b64 v[17:18], 2, v[18:19]
	v_mov_b32_e32 v15, v21
	v_mad_u64_u32 v[24:25], null, s21, v8, v[10:11]
	v_lshlrev_b64 v[12:13], 2, v[12:13]
	v_add_co_u32 v0, s0, s8, v17
	v_add_co_ci_u32_e64 v10, s0, s9, v18, s0
	v_mad_u64_u32 v[21:22], null, s21, v26, v[15:16]
	v_mov_b32_e32 v15, v23
	v_add_co_u32 v33, s0, v0, v5
	v_add_co_ci_u32_e64 v34, s0, v10, v6, s0
	v_mad_u64_u32 v[18:19], null, s20, v9, 0
	v_lshlrev_b64 v[5:6], 2, v[14:15]
	v_add_co_u32 v14, s0, v33, v12
	v_add_co_ci_u32_e64 v15, s0, v34, v13, s0
	v_add_nc_u32_e32 v13, 0x268, v7
	v_add_co_u32 v5, s0, v33, v5
	v_mov_b32_e32 v0, v19
	v_lshlrev_b64 v[19:20], 2, v[20:21]
	v_mad_u64_u32 v[21:22], null, s20, v13, 0
	v_add_co_ci_u32_e64 v6, s0, v34, v6, s0
	v_mov_b32_e32 v17, v24
	v_mad_u64_u32 v[23:24], null, s21, v9, v[0:1]
	global_load_dword v12, v[5:6], off
	v_mov_b32_e32 v0, v22
	v_lshlrev_b64 v[5:6], 2, v[16:17]
	v_add_co_u32 v16, s0, v33, v19
	v_add_co_ci_u32_e64 v17, s0, v34, v20, s0
	v_add_nc_u32_e32 v20, 0x2c0, v7
	v_add_nc_u32_e32 v10, 0x108, v7
	v_mov_b32_e32 v19, v23
	v_mad_u64_u32 v[22:23], null, s21, v13, v[0:1]
	v_mad_u64_u32 v[25:26], null, s20, v20, 0
	;; [unrolled: 1-line block ×3, first 2 shown]
	global_load_dword v13, v[16:17], off
	v_lshlrev_b64 v[16:17], 2, v[18:19]
	v_add_nc_u32_e32 v18, 0x160, v7
	v_add_co_u32 v5, s0, v33, v5
	v_mov_b32_e32 v0, v26
	v_mov_b32_e32 v19, v24
	v_add_nc_u32_e32 v24, 0x318, v7
	v_mad_u64_u32 v[29:30], null, s20, v18, 0
	v_mad_u64_u32 v[26:27], null, s21, v20, v[0:1]
	;; [unrolled: 1-line block ×3, first 2 shown]
	v_add_co_ci_u32_e64 v6, s0, v34, v6, s0
	v_add_co_u32 v31, s0, v33, v16
	v_add_co_ci_u32_e64 v32, s0, v34, v17, s0
	v_mov_b32_e32 v0, v28
	v_lshlrev_b64 v[16:17], 2, v[21:22]
	v_mad_u64_u32 v[19:20], null, s21, v10, v[19:20]
	v_mov_b32_e32 v20, v30
	v_mad_u64_u32 v[21:22], null, s21, v24, v[0:1]
	v_lshlrev_b64 v[25:26], 2, v[25:26]
	v_add_co_u32 v16, s0, v33, v16
	v_mov_b32_e32 v24, v19
	v_add_co_ci_u32_e64 v17, s0, v34, v17, s0
	v_mad_u64_u32 v[19:20], null, s21, v18, v[20:21]
	v_mov_b32_e32 v28, v21
	v_lshlrev_b64 v[22:23], 2, v[23:24]
	v_add_co_u32 v20, s0, v33, v25
	v_add_co_ci_u32_e64 v21, s0, v34, v26, s0
	v_mov_b32_e32 v30, v19
	v_lshlrev_b64 v[24:25], 2, v[27:28]
	v_add_co_u32 v26, s0, v33, v22
	s_clause 0x1
	global_load_dword v16, v[16:17], off
	global_load_dword v19, v[20:21], off
	v_add_co_ci_u32_e64 v27, s0, v34, v23, s0
	v_lshlrev_b64 v[20:21], 2, v[29:30]
	v_add_co_u32 v22, s0, v33, v24
	v_add_co_ci_u32_e64 v23, s0, v34, v25, s0
	v_add_co_u32 v24, s0, v33, v20
	v_add_co_ci_u32_e64 v25, s0, v34, v21, s0
	s_clause 0x5
	global_load_dword v21, v[22:23], off
	global_load_dword v17, v[14:15], off
	;; [unrolled: 1-line block ×6, first 2 shown]
	s_waitcnt vmcnt(9)
	v_lshrrev_b32_e32 v28, 16, v12
	s_waitcnt vmcnt(8)
	v_lshrrev_b32_e32 v26, 16, v13
	;; [unrolled: 2-line block ×5, first 2 shown]
.LBB0_13:
	s_or_b32 exec_lo, exec_lo, s1
	v_and_b32_e32 v0, 1, v11
	s_waitcnt vmcnt(4)
	v_lshrrev_b32_e32 v5, 16, v17
	v_sub_f16_e32 v6, v17, v12
	s_waitcnt vmcnt(0)
	v_sub_f16_e32 v21, v14, v21
	s_load_dwordx2 s[4:5], s[4:5], 0x0
	v_cmp_eq_u32_e64 s0, 1, v0
	v_sub_f16_e32 v24, v5, v28
	v_lshrrev_b32_e32 v0, 16, v22
	v_fma_f16 v11, v17, 2.0, -v6
	v_lshrrev_b32_e32 v17, 16, v20
	v_cndmask_b32_e64 v12, 0, 0x370, s0
	v_fma_f16 v29, v5, 2.0, -v24
	v_sub_f16_e32 v26, v0, v26
	v_sub_f16_e32 v5, v20, v16
	v_sub_f16_e32 v27, v17, v27
	v_sub_f16_e32 v28, v22, v13
	v_lshl_add_u32 v13, v12, 1, 0
	v_fma_f16 v30, v0, 2.0, -v26
	v_fma_f16 v0, v20, 2.0, -v5
	;; [unrolled: 1-line block ×3, first 2 shown]
	v_sub_f16_e32 v17, v15, v19
	v_fma_f16 v16, v22, 2.0, -v28
	v_lshrrev_b32_e32 v22, 16, v15
	v_fma_f16 v32, v14, 2.0, -v21
	v_lshl_add_u32 v33, v7, 2, v13
	v_fma_f16 v31, v15, 2.0, -v17
	v_pack_b32_f16 v6, v11, v6
	v_sub_f16_e32 v19, v22, v25
	v_lshrrev_b32_e32 v25, 16, v14
	v_lshl_add_u32 v34, v8, 2, v13
	v_pack_b32_f16 v11, v16, v28
	v_lshlrev_b32_e32 v14, 1, v7
	ds_write_b32 v33, v6
	v_lshlrev_b32_e32 v15, 1, v8
	v_lshlrev_b32_e32 v16, 1, v9
	v_lshl_add_u32 v28, v9, 2, v13
	v_pack_b32_f16 v0, v0, v5
	v_lshl_add_u32 v35, v10, 2, v13
	v_pack_b32_f16 v5, v31, v17
	;; [unrolled: 2-line block ×3, first 2 shown]
	v_fma_f16 v22, v22, 2.0, -v19
	v_sub_f16_e32 v23, v25, v23
	ds_write_b32 v34, v11
	ds_write_b32 v28, v0
	v_lshlrev_b32_e32 v17, 1, v10
	ds_write_b32 v35, v5
	v_lshlrev_b32_e32 v18, 1, v18
	ds_write_b32 v31, v6
	v_sub_nc_u32_e32 v6, v28, v16
	v_add_nc_u32_e32 v0, v13, v14
	v_sub_nc_u32_e32 v9, v34, v15
	v_pack_b32_f16 v24, v29, v24
	v_sub_nc_u32_e32 v5, v33, v14
	v_fma_f16 v25, v25, 2.0, -v23
	s_waitcnt lgkmcnt(0)
	s_barrier
	buffer_gl0_inv
	ds_read_u16 v21, v6
	v_sub_nc_u32_e32 v10, v35, v17
	v_sub_nc_u32_e32 v11, v31, v18
	ds_read_u16 v32, v0
	ds_read_u16 v36, v5 offset:880
	ds_read_u16 v37, v5 offset:1056
	;; [unrolled: 1-line block ×4, first 2 shown]
	ds_read_u16 v40, v10
	ds_read_u16 v41, v11
	;; [unrolled: 1-line block ×3, first 2 shown]
	ds_read_u16 v42, v5 offset:1584
	s_waitcnt lgkmcnt(0)
	s_barrier
	buffer_gl0_inv
	ds_write_b32 v33, v24
	v_pack_b32_f16 v24, v30, v26
	v_pack_b32_f16 v19, v22, v19
	v_and_b32_e32 v22, 1, v7
	v_pack_b32_f16 v20, v20, v27
	v_pack_b32_f16 v23, v25, v23
	ds_write_b32 v34, v24
	ds_write_b32 v28, v20
	;; [unrolled: 1-line block ×3, first 2 shown]
	v_lshlrev_b32_e32 v19, 2, v22
	ds_write_b32 v31, v23
	s_waitcnt lgkmcnt(0)
	s_barrier
	buffer_gl0_inv
	global_load_dword v19, v19, s[12:13]
	ds_read_u16 v26, v0
	ds_read_u16 v27, v5 offset:880
	ds_read_u16 v30, v5 offset:1056
	;; [unrolled: 1-line block ×3, first 2 shown]
	ds_read_u16 v33, v6
	ds_read_u16 v34, v5 offset:1408
	ds_read_u16 v35, v9
	ds_read_u16 v43, v5 offset:1584
	ds_read_u16 v45, v10
	ds_read_u16 v46, v11
	v_and_b32_e32 v20, 3, v7
	v_and_or_b32 v23, 0xfc, v14, v22
	v_and_or_b32 v24, 0x1fc, v15, v22
	;; [unrolled: 1-line block ×5, first 2 shown]
	v_lshlrev_b32_e32 v44, 2, v20
	v_lshl_add_u32 v23, v23, 1, v13
	v_lshl_add_u32 v24, v24, 1, v13
	;; [unrolled: 1-line block ×5, first 2 shown]
	s_waitcnt vmcnt(0) lgkmcnt(0)
	s_barrier
	buffer_gl0_inv
	v_cmp_gt_u32_e64 s0, 0x50, v7
	v_mul_f16_sdwa v47, v27, v19 dst_sel:DWORD dst_unused:UNUSED_PAD src0_sel:DWORD src1_sel:WORD_1
	v_mul_f16_sdwa v48, v36, v19 dst_sel:DWORD dst_unused:UNUSED_PAD src0_sel:DWORD src1_sel:WORD_1
	;; [unrolled: 1-line block ×10, first 2 shown]
	v_fma_f16 v36, v36, v19, -v47
	v_fmac_f16_e32 v48, v27, v19
	v_fma_f16 v27, v37, v19, -v49
	v_fmac_f16_e32 v50, v30, v19
	;; [unrolled: 2-line block ×5, first 2 shown]
	v_sub_f16_e32 v19, v32, v36
	v_sub_f16_e32 v36, v26, v48
	;; [unrolled: 1-line block ×10, first 2 shown]
	v_fma_f16 v26, v26, 2.0, -v36
	v_fma_f16 v32, v32, 2.0, -v19
	;; [unrolled: 1-line block ×10, first 2 shown]
	ds_write_b16 v23, v19 offset:4
	ds_write_b16 v23, v32
	ds_write_b16 v24, v29
	ds_write_b16 v24, v27 offset:4
	ds_write_b16 v25, v21
	ds_write_b16 v25, v30 offset:4
	ds_write_b16 v28, v40
	ds_write_b16 v28, v31 offset:4
	ds_write_b16 v22, v41
	ds_write_b16 v22, v34 offset:4
	s_waitcnt lgkmcnt(0)
	s_barrier
	buffer_gl0_inv
	ds_read_u16 v19, v6
	ds_read_u16 v21, v0
	ds_read_u16 v27, v5 offset:880
	ds_read_u16 v29, v5 offset:1056
	;; [unrolled: 1-line block ×4, first 2 shown]
	ds_read_u16 v32, v10
	ds_read_u16 v34, v11
	;; [unrolled: 1-line block ×3, first 2 shown]
	ds_read_u16 v41, v5 offset:1584
	s_waitcnt lgkmcnt(0)
	s_barrier
	buffer_gl0_inv
	ds_write_b16 v23, v26
	ds_write_b16 v23, v36 offset:4
	ds_write_b16 v24, v35
	ds_write_b16 v24, v37 offset:4
	;; [unrolled: 2-line block ×5, first 2 shown]
	s_waitcnt lgkmcnt(0)
	s_barrier
	buffer_gl0_inv
	global_load_dword v22, v44, s[12:13] offset:8
	ds_read_u16 v28, v0
	ds_read_u16 v33, v5 offset:880
	ds_read_u16 v36, v5 offset:1056
	;; [unrolled: 1-line block ×3, first 2 shown]
	ds_read_u16 v38, v6
	ds_read_u16 v39, v5 offset:1408
	ds_read_u16 v42, v9
	ds_read_u16 v43, v5 offset:1584
	v_and_or_b32 v23, 0xf8, v14, v20
	v_and_or_b32 v24, 0x1f8, v15, v20
	;; [unrolled: 1-line block ×3, first 2 shown]
	v_and_b32_e32 v25, 7, v7
	v_and_or_b32 v35, 0x3f8, v17, v20
	v_lshl_add_u32 v45, v23, 1, v13
	v_lshl_add_u32 v46, v24, 1, v13
	ds_read_u16 v23, v10
	ds_read_u16 v24, v11
	v_lshl_add_u32 v47, v26, 1, v13
	v_and_or_b32 v20, 0x3f8, v18, v20
	v_lshlrev_b32_e32 v44, 2, v25
	v_lshl_add_u32 v35, v35, 1, v13
	s_waitcnt vmcnt(0) lgkmcnt(0)
	s_barrier
	v_lshl_add_u32 v20, v20, 1, v13
	buffer_gl0_inv
	v_and_or_b32 v14, 0xf0, v14, v25
	v_and_or_b32 v15, 0x1f0, v15, v25
	v_and_or_b32 v16, 0x3f0, v16, v25
	v_and_or_b32 v17, 0x3f0, v17, v25
	v_and_or_b32 v18, 0x3f0, v18, v25
	v_mul_f16_sdwa v48, v27, v22 dst_sel:DWORD dst_unused:UNUSED_PAD src0_sel:DWORD src1_sel:WORD_1
	v_mul_f16_sdwa v26, v33, v22 dst_sel:DWORD dst_unused:UNUSED_PAD src0_sel:DWORD src1_sel:WORD_1
	;; [unrolled: 1-line block ×10, first 2 shown]
	v_fmac_f16_e32 v48, v33, v22
	v_fma_f16 v26, v27, v22, -v26
	v_fma_f16 v27, v29, v22, -v49
	v_fmac_f16_e32 v50, v36, v22
	v_fma_f16 v29, v30, v22, -v51
	v_fmac_f16_e32 v52, v37, v22
	;; [unrolled: 2-line block ×4, first 2 shown]
	v_sub_f16_e32 v33, v28, v48
	v_sub_f16_e32 v22, v21, v26
	;; [unrolled: 1-line block ×10, first 2 shown]
	v_fma_f16 v28, v28, 2.0, -v33
	v_fma_f16 v21, v21, 2.0, -v22
	;; [unrolled: 1-line block ×10, first 2 shown]
	ds_write_b16 v45, v22 offset:8
	ds_write_b16 v45, v21
	ds_write_b16 v46, v40
	ds_write_b16 v46, v26 offset:8
	ds_write_b16 v47, v19
	ds_write_b16 v47, v27 offset:8
	;; [unrolled: 2-line block ×4, first 2 shown]
	s_waitcnt lgkmcnt(0)
	s_barrier
	buffer_gl0_inv
	ds_read_u16 v19, v6
	ds_read_u16 v21, v0
	ds_read_u16 v27, v5 offset:880
	ds_read_u16 v26, v5 offset:1056
	;; [unrolled: 1-line block ×4, first 2 shown]
	ds_read_u16 v48, v10
	ds_read_u16 v49, v11
	ds_read_u16 v50, v9
	ds_read_u16 v23, v5 offset:1584
	s_waitcnt lgkmcnt(0)
	s_barrier
	buffer_gl0_inv
	ds_write_b16 v45, v28
	ds_write_b16 v45, v33 offset:8
	ds_write_b16 v46, v41
	ds_write_b16 v46, v36 offset:8
	;; [unrolled: 2-line block ×5, first 2 shown]
	s_waitcnt lgkmcnt(0)
	s_barrier
	buffer_gl0_inv
	global_load_dword v28, v44, s[12:13] offset:24
	ds_read_u16 v30, v6
	ds_read_u16 v33, v0
	ds_read_u16 v29, v5 offset:880
	ds_read_u16 v32, v5 offset:1056
	;; [unrolled: 1-line block ×4, first 2 shown]
	ds_read_u16 v36, v9
	ds_read_u16 v43, v5 offset:1584
	v_lshl_add_u32 v39, v14, 1, v13
	v_lshl_add_u32 v38, v15, 1, v13
	;; [unrolled: 1-line block ×5, first 2 shown]
	ds_read_u16 v40, v10
	ds_read_u16 v41, v11
	s_waitcnt vmcnt(0) lgkmcnt(0)
	s_barrier
	buffer_gl0_inv
                                        ; implicit-def: $vgpr45
	v_mul_f16_sdwa v13, v29, v28 dst_sel:DWORD dst_unused:UNUSED_PAD src0_sel:DWORD src1_sel:WORD_1
	v_mul_f16_sdwa v14, v32, v28 dst_sel:DWORD dst_unused:UNUSED_PAD src0_sel:DWORD src1_sel:WORD_1
	;; [unrolled: 1-line block ×5, first 2 shown]
	v_fma_f16 v13, v27, v28, -v13
	v_fma_f16 v14, v26, v28, -v14
	;; [unrolled: 1-line block ×5, first 2 shown]
	v_sub_f16_e32 v18, v21, v13
	v_sub_f16_e32 v17, v50, v14
	;; [unrolled: 1-line block ×5, first 2 shown]
	v_fma_f16 v13, v21, 2.0, -v18
	v_fma_f16 v25, v50, 2.0, -v17
	;; [unrolled: 1-line block ×5, first 2 shown]
	ds_write_b16 v39, v18 offset:16
	ds_write_b16 v39, v13
	ds_write_b16 v38, v25
	ds_write_b16 v38, v17 offset:16
	ds_write_b16 v35, v21
	ds_write_b16 v35, v16 offset:16
	;; [unrolled: 2-line block ×4, first 2 shown]
	s_waitcnt lgkmcnt(0)
	s_barrier
	buffer_gl0_inv
	s_and_saveexec_b32 s1, s0
	s_cbranch_execz .LBB0_15
; %bb.14:
	ds_read_u16 v13, v0
	ds_read_u16 v18, v5 offset:160
	ds_read_u16 v25, v5 offset:320
	;; [unrolled: 1-line block ×10, first 2 shown]
.LBB0_15:
	s_or_b32 exec_lo, exec_lo, s1
	v_mul_f16_sdwa v27, v27, v28 dst_sel:DWORD dst_unused:UNUSED_PAD src0_sel:DWORD src1_sel:WORD_1
	v_mul_f16_sdwa v26, v26, v28 dst_sel:DWORD dst_unused:UNUSED_PAD src0_sel:DWORD src1_sel:WORD_1
	;; [unrolled: 1-line block ×5, first 2 shown]
	v_fmac_f16_e32 v27, v29, v28
	v_fmac_f16_e32 v26, v32, v28
	v_fmac_f16_e32 v24, v37, v28
	v_fmac_f16_e32 v22, v42, v28
	v_fmac_f16_e32 v23, v43, v28
	v_sub_f16_e32 v32, v33, v27
	v_sub_f16_e32 v28, v36, v26
	;; [unrolled: 1-line block ×5, first 2 shown]
	v_fma_f16 v24, v33, 2.0, -v32
	v_fma_f16 v36, v36, 2.0, -v28
	;; [unrolled: 1-line block ×5, first 2 shown]
	s_waitcnt lgkmcnt(0)
	s_barrier
	buffer_gl0_inv
	ds_write_b16 v39, v24
	ds_write_b16 v39, v32 offset:16
	ds_write_b16 v38, v36
	ds_write_b16 v38, v28 offset:16
	;; [unrolled: 2-line block ×5, first 2 shown]
	s_waitcnt lgkmcnt(0)
	s_barrier
	buffer_gl0_inv
                                        ; implicit-def: $vgpr48
	s_and_saveexec_b32 s1, s0
	s_cbranch_execz .LBB0_17
; %bb.16:
	ds_read_u16 v24, v0
	ds_read_u16 v32, v5 offset:160
	ds_read_u16 v36, v5 offset:320
	;; [unrolled: 1-line block ×10, first 2 shown]
.LBB0_17:
	s_or_b32 exec_lo, exec_lo, s1
	v_and_b32_e32 v22, 15, v7
	v_mul_u32_u24_e32 v23, 10, v22
	v_lshlrev_b32_e32 v23, 2, v23
	s_clause 0x2
	global_load_dwordx4 v[49:52], v23, s[12:13] offset:56
	global_load_dwordx4 v[53:56], v23, s[12:13] offset:72
	global_load_dwordx2 v[57:58], v23, s[12:13] offset:88
	v_lshrrev_b32_e32 v23, 4, v7
	s_waitcnt vmcnt(0) lgkmcnt(0)
	s_barrier
	buffer_gl0_inv
	v_mul_f16_sdwa v41, v32, v49 dst_sel:DWORD dst_unused:UNUSED_PAD src0_sel:DWORD src1_sel:WORD_1
	v_mul_f16_sdwa v42, v18, v49 dst_sel:DWORD dst_unused:UNUSED_PAD src0_sel:DWORD src1_sel:WORD_1
	v_mul_f16_sdwa v59, v36, v50 dst_sel:DWORD dst_unused:UNUSED_PAD src0_sel:DWORD src1_sel:WORD_1
	v_mul_f16_sdwa v40, v25, v50 dst_sel:DWORD dst_unused:UNUSED_PAD src0_sel:DWORD src1_sel:WORD_1
	v_mul_f16_sdwa v60, v28, v51 dst_sel:DWORD dst_unused:UNUSED_PAD src0_sel:DWORD src1_sel:WORD_1
	v_mul_f16_sdwa v34, v17, v51 dst_sel:DWORD dst_unused:UNUSED_PAD src0_sel:DWORD src1_sel:WORD_1
	v_mul_f16_sdwa v61, v47, v52 dst_sel:DWORD dst_unused:UNUSED_PAD src0_sel:DWORD src1_sel:WORD_1
	v_mul_f16_sdwa v30, v21, v52 dst_sel:DWORD dst_unused:UNUSED_PAD src0_sel:DWORD src1_sel:WORD_1
	v_mul_f16_sdwa v62, v29, v53 dst_sel:DWORD dst_unused:UNUSED_PAD src0_sel:DWORD src1_sel:WORD_1
	v_mul_f16_sdwa v26, v16, v53 dst_sel:DWORD dst_unused:UNUSED_PAD src0_sel:DWORD src1_sel:WORD_1
	v_mul_f16_sdwa v63, v33, v54 dst_sel:DWORD dst_unused:UNUSED_PAD src0_sel:DWORD src1_sel:WORD_1
	v_mul_f16_sdwa v27, v20, v54 dst_sel:DWORD dst_unused:UNUSED_PAD src0_sel:DWORD src1_sel:WORD_1
	v_mul_f16_sdwa v64, v37, v55 dst_sel:DWORD dst_unused:UNUSED_PAD src0_sel:DWORD src1_sel:WORD_1
	v_mul_f16_sdwa v31, v15, v55 dst_sel:DWORD dst_unused:UNUSED_PAD src0_sel:DWORD src1_sel:WORD_1
	v_mul_f16_sdwa v65, v43, v56 dst_sel:DWORD dst_unused:UNUSED_PAD src0_sel:DWORD src1_sel:WORD_1
	v_mul_f16_sdwa v35, v19, v56 dst_sel:DWORD dst_unused:UNUSED_PAD src0_sel:DWORD src1_sel:WORD_1
	v_mul_f16_sdwa v66, v46, v57 dst_sel:DWORD dst_unused:UNUSED_PAD src0_sel:DWORD src1_sel:WORD_1
	v_mul_f16_sdwa v39, v14, v57 dst_sel:DWORD dst_unused:UNUSED_PAD src0_sel:DWORD src1_sel:WORD_1
	v_mul_f16_sdwa v67, v48, v58 dst_sel:DWORD dst_unused:UNUSED_PAD src0_sel:DWORD src1_sel:WORD_1
	v_mul_f16_sdwa v38, v45, v58 dst_sel:DWORD dst_unused:UNUSED_PAD src0_sel:DWORD src1_sel:WORD_1
	v_fma_f16 v44, v18, v49, -v41
	v_fmac_f16_e32 v42, v32, v49
	v_fma_f16 v41, v25, v50, -v59
	v_fmac_f16_e32 v40, v36, v50
	;; [unrolled: 2-line block ×10, first 2 shown]
	v_lshlrev_b32_e32 v25, 1, v12
	s_and_saveexec_b32 s1, s0
	s_cbranch_execz .LBB0_19
; %bb.18:
	v_sub_f16_e32 v15, v42, v38
	v_add_f16_e32 v14, v44, v45
	v_sub_f16_e32 v17, v40, v39
	v_add_f16_e32 v16, v41, v43
	v_sub_f16_e32 v19, v34, v35
	v_mul_f16_e32 v48, 0xb482, v15
	v_add_f16_e32 v18, v36, v37
	v_mul_f16_e32 v49, 0x3853, v17
	v_sub_f16_e32 v21, v30, v31
	v_mul_f16_e32 v50, 0xba0c, v19
	v_fmamk_f16 v53, v14, 0xbbad, v48
	v_fma_f16 v48, v14, 0xbbad, -v48
	v_fmamk_f16 v56, v16, 0x3abb, v49
	v_fma_f16 v49, v16, 0x3abb, -v49
	v_add_f16_e32 v20, v32, v33
	v_add_f16_e32 v53, v13, v53
	;; [unrolled: 1-line block ×3, first 2 shown]
	v_sub_f16_e32 v47, v26, v27
	v_mul_f16_e32 v51, 0x3b47, v21
	v_fmamk_f16 v57, v18, 0xb93d, v50
	v_add_f16_e32 v53, v56, v53
	v_fma_f16 v50, v18, 0xb93d, -v50
	v_add_f16_e32 v48, v49, v48
	v_add_f16_e32 v46, v28, v29
	v_mul_f16_e32 v52, 0xbbeb, v47
	v_mul_f16_e32 v54, 0xba0c, v15
	v_fmamk_f16 v58, v20, 0x36a6, v51
	v_add_f16_e32 v53, v57, v53
	v_fma_f16 v51, v20, 0x36a6, -v51
	v_add_f16_e32 v48, v50, v48
	v_mul_f16_e32 v55, 0x3beb, v17
	v_fmamk_f16 v56, v46, 0xb08e, v52
	v_fmamk_f16 v57, v14, 0xb93d, v54
	v_add_f16_e32 v49, v58, v53
	v_add_f16_e32 v48, v51, v48
	v_fma_f16 v51, v46, 0xb08e, -v52
	v_fma_f16 v52, v14, 0xb93d, -v54
	v_add_f16_e32 v53, v13, v57
	v_add_f16_e32 v49, v56, v49
	v_fmamk_f16 v50, v16, 0xb08e, v55
	v_mul_f16_e32 v56, 0xb853, v19
	v_add_f16_e32 v48, v51, v48
	v_add_f16_e32 v51, v13, v52
	v_fma_f16 v52, v16, 0xb08e, -v55
	v_add_f16_e32 v50, v50, v53
	v_fmamk_f16 v53, v18, 0x3abb, v56
	v_mul_f16_e32 v54, 0xb482, v21
	v_mul_f16_e32 v55, 0x3b47, v47
	v_add_f16_e32 v51, v52, v51
	v_fma_f16 v52, v18, 0x3abb, -v56
	v_add_f16_e32 v50, v53, v50
	v_fmamk_f16 v53, v20, 0xbbad, v54
	v_mul_f16_e32 v57, 0xbbeb, v15
	v_mul_f16_e32 v58, 0x3482, v17
	v_add_f16_e32 v51, v52, v51
	v_fma_f16 v52, v20, 0xbbad, -v54
	v_add_f16_e32 v50, v53, v50
	v_fmamk_f16 v53, v46, 0x36a6, v55
	v_fmamk_f16 v56, v14, 0xb08e, v57
	;; [unrolled: 1-line block ×3, first 2 shown]
	v_add_f16_e32 v51, v52, v51
	v_fma_f16 v52, v46, 0x36a6, -v55
	v_fma_f16 v55, v14, 0xb08e, -v57
	v_add_f16_e32 v50, v53, v50
	v_add_f16_e32 v53, v13, v56
	v_mul_f16_e32 v56, 0x3b47, v19
	v_add_f16_e32 v51, v52, v51
	v_add_f16_e32 v52, v13, v55
	v_fma_f16 v55, v16, 0xbbad, -v58
	v_add_f16_e32 v12, v13, v44
	v_add_f16_e32 v53, v54, v53
	v_fmamk_f16 v54, v18, 0x36a6, v56
	v_mul_f16_e32 v57, 0xb853, v21
	v_add_f16_e32 v52, v55, v52
	v_fma_f16 v55, v18, 0x36a6, -v56
	v_add_f16_e32 v12, v12, v41
	v_add_f16_e32 v53, v54, v53
	v_fmamk_f16 v54, v20, 0x3abb, v57
	v_mul_f16_e32 v58, 0xba0c, v47
	v_mul_f16_e32 v59, 0xbb47, v15
	v_add_f16_e32 v52, v55, v52
	v_fma_f16 v55, v20, 0x3abb, -v57
	v_add_f16_e32 v12, v12, v36
	v_add_f16_e32 v53, v54, v53
	v_fmamk_f16 v54, v46, 0xb93d, v58
	v_mul_f16_e32 v60, 0xba0c, v17
	v_add_f16_e32 v52, v55, v52
	v_fma_f16 v55, v46, 0xb93d, -v58
	v_fma_f16 v58, v14, 0x36a6, -v59
	v_add_f16_e32 v12, v12, v32
	v_mul_f16_e32 v15, 0xb853, v15
	v_mul_f16_e32 v17, 0xbb47, v17
	v_add_f16_e32 v52, v55, v52
	v_add_f16_e32 v55, v13, v58
	v_fma_f16 v58, v16, 0xb93d, -v60
	v_add_f16_e32 v12, v12, v28
	v_fmamk_f16 v56, v14, 0x36a6, v59
	v_mul_f16_e32 v57, 0x3482, v19
	v_mul_f16_e32 v19, 0xbbeb, v19
	v_add_f16_e32 v55, v58, v55
	v_fma_f16 v58, v14, 0x3abb, -v15
	v_add_f16_e32 v12, v12, v29
	v_fmamk_f16 v14, v14, 0x3abb, v15
	v_add_f16_e32 v53, v54, v53
	v_add_f16_e32 v54, v13, v56
	;; [unrolled: 1-line block ×3, first 2 shown]
	v_fma_f16 v58, v16, 0x36a6, -v17
	v_fmamk_f16 v56, v16, 0xb93d, v60
	v_add_f16_e32 v12, v12, v33
	v_mul_f16_e32 v59, 0x3beb, v21
	v_add_f16_e32 v13, v13, v14
	v_fmamk_f16 v14, v16, 0x36a6, v17
	v_add_f16_e32 v15, v58, v15
	v_fma_f16 v16, v18, 0xb08e, -v19
	v_mul_f16_e32 v17, 0xba0c, v21
	v_mul_u32_u24_e32 v21, 0xb0, v23
	v_add_f16_e32 v54, v56, v54
	v_fmamk_f16 v56, v18, 0xbbad, v57
	v_fma_f16 v57, v18, 0xbbad, -v57
	v_add_f16_e32 v12, v12, v37
	v_add_f16_e32 v13, v14, v13
	v_fmamk_f16 v14, v18, 0xb08e, v19
	v_add_f16_e32 v15, v16, v15
	v_fma_f16 v16, v20, 0xb93d, -v17
	v_or_b32_e32 v18, v21, v22
	v_mul_f16_e32 v19, 0xb482, v47
	v_mul_f16_e32 v60, 0x3853, v47
	v_add_f16_e32 v55, v57, v55
	v_fma_f16 v57, v20, 0xb08e, -v59
	v_add_f16_e32 v12, v12, v43
	v_add_f16_e32 v54, v56, v54
	v_fmamk_f16 v56, v20, 0xb08e, v59
	v_add_f16_e32 v13, v14, v13
	v_fmamk_f16 v14, v20, 0xb93d, v17
	v_add_f16_e32 v15, v16, v15
	v_lshlrev_b32_e32 v16, 1, v18
	v_fma_f16 v17, v46, 0xbbad, -v19
	v_add_f16_e32 v55, v57, v55
	v_fma_f16 v18, v46, 0x3abb, -v60
	v_add_f16_e32 v12, v12, v45
	v_add_f16_e32 v54, v56, v54
	v_fmamk_f16 v56, v46, 0x3abb, v60
	v_add_f16_e32 v13, v14, v13
	v_fmamk_f16 v14, v46, 0xbbad, v19
	v_add3_u32 v16, 0, v16, v25
	v_add_f16_e32 v15, v17, v15
	v_add_f16_e32 v17, v18, v55
	;; [unrolled: 1-line block ×4, first 2 shown]
	ds_write_b16 v16, v12
	ds_write_b16 v16, v15 offset:32
	ds_write_b16 v16, v17 offset:64
	;; [unrolled: 1-line block ×10, first 2 shown]
.LBB0_19:
	s_or_b32 exec_lo, exec_lo, s1
	s_waitcnt lgkmcnt(0)
	s_barrier
	buffer_gl0_inv
	ds_read_u16 v12, v0
	ds_read_u16 v14, v11
	;; [unrolled: 1-line block ×5, first 2 shown]
	ds_read_u16 v19, v5 offset:1584
	ds_read_u16 v16, v5 offset:1408
	;; [unrolled: 1-line block ×5, first 2 shown]
	s_waitcnt lgkmcnt(0)
	s_barrier
	buffer_gl0_inv
	s_and_saveexec_b32 s1, s0
	s_cbranch_execz .LBB0_21
; %bb.20:
	v_add_f16_e32 v46, v24, v42
	v_sub_f16_e32 v44, v44, v45
	v_add_f16_e32 v45, v40, v39
	v_add_f16_e32 v42, v42, v38
	v_sub_f16_e32 v41, v41, v43
	v_add_f16_e32 v40, v46, v40
	v_mul_f16_e32 v43, 0xb853, v44
	v_mul_f16_e32 v46, 0xbb47, v44
	;; [unrolled: 1-line block ×4, first 2 shown]
	v_add_f16_e32 v40, v40, v34
	v_mul_f16_e32 v44, 0xb482, v44
	v_mul_f16_e32 v49, 0xbb47, v41
	v_fmamk_f16 v52, v42, 0x3abb, v43
	v_fma_f16 v43, v42, 0x3abb, -v43
	v_add_f16_e32 v40, v40, v30
	v_mul_f16_e32 v50, 0xba0c, v41
	v_fmamk_f16 v53, v42, 0x36a6, v46
	v_fma_f16 v46, v42, 0x36a6, -v46
	v_fmamk_f16 v54, v42, 0xb08e, v47
	v_add_f16_e32 v40, v40, v26
	v_fma_f16 v47, v42, 0xb08e, -v47
	v_fmamk_f16 v55, v42, 0xb93d, v48
	v_fma_f16 v48, v42, 0xb93d, -v48
	v_fmamk_f16 v56, v42, 0xbbad, v44
	v_add_f16_e32 v40, v40, v27
	v_fma_f16 v42, v42, 0xbbad, -v44
	v_fmamk_f16 v44, v45, 0x36a6, v49
	v_fma_f16 v49, v45, 0x36a6, -v49
	v_add_f16_e32 v52, v24, v52
	v_add_f16_e32 v40, v40, v31
	;; [unrolled: 1-line block ×9, first 2 shown]
	v_mul_f16_e32 v51, 0x3482, v41
	v_sub_f16_e32 v36, v36, v37
	v_add_f16_e32 v39, v40, v39
	v_add_f16_e32 v40, v24, v48
	;; [unrolled: 1-line block ×7, first 2 shown]
	v_fma_f16 v43, v45, 0xb93d, -v50
	v_mul_f16_e32 v44, 0x3beb, v41
	v_mul_f16_e32 v41, 0x3853, v41
	v_fmamk_f16 v57, v45, 0xb93d, v50
	v_fmamk_f16 v49, v45, 0xbbad, v51
	v_add_f16_e32 v43, v43, v46
	v_fmamk_f16 v46, v45, 0xb08e, v44
	v_fma_f16 v51, v45, 0xbbad, -v51
	v_fma_f16 v44, v45, 0xb08e, -v44
	v_add_f16_e32 v34, v34, v35
	v_mul_f16_e32 v35, 0xbbeb, v36
	v_add_f16_e32 v37, v46, v55
	v_fmamk_f16 v46, v45, 0x3abb, v41
	v_fma_f16 v41, v45, 0x3abb, -v41
	v_mul_f16_e32 v45, 0x3482, v36
	v_add_f16_e32 v40, v44, v40
	v_add_f16_e32 v47, v51, v47
	;; [unrolled: 1-line block ×3, first 2 shown]
	v_fmamk_f16 v46, v34, 0xb08e, v35
	v_add_f16_e32 v24, v41, v24
	v_fma_f16 v35, v34, 0xb08e, -v35
	v_mul_f16_e32 v41, 0x3b47, v36
	v_fmamk_f16 v48, v34, 0xbbad, v45
	v_fma_f16 v45, v34, 0xbbad, -v45
	v_sub_f16_e32 v32, v32, v33
	v_add_f16_e32 v35, v35, v39
	v_fmamk_f16 v39, v34, 0x36a6, v41
	v_fma_f16 v41, v34, 0x36a6, -v41
	v_add_f16_e32 v43, v45, v43
	v_mul_f16_e32 v45, 0xb853, v36
	v_mul_f16_e32 v36, 0xba0c, v36
	v_add_f16_e32 v30, v30, v31
	v_add_f16_e32 v41, v41, v47
	v_mul_f16_e32 v31, 0xba0c, v32
	v_fmamk_f16 v33, v34, 0x3abb, v45
	v_fma_f16 v45, v34, 0x3abb, -v45
	v_fmamk_f16 v47, v34, 0xb93d, v36
	v_fma_f16 v34, v34, 0xb93d, -v36
	v_add_f16_e32 v42, v46, v42
	v_add_f16_e32 v33, v33, v37
	;; [unrolled: 1-line block ×4, first 2 shown]
	v_fmamk_f16 v40, v30, 0xb93d, v31
	v_mul_f16_e32 v44, 0x3beb, v32
	v_fma_f16 v31, v30, 0xb93d, -v31
	v_add_f16_e32 v24, v34, v24
	v_mul_f16_e32 v34, 0xb853, v32
	v_add_f16_e32 v40, v40, v42
	v_fmamk_f16 v42, v30, 0xb08e, v44
	v_add_f16_e32 v31, v31, v35
	v_fma_f16 v35, v30, 0xb08e, -v44
	v_fmamk_f16 v44, v30, 0x3abb, v34
	v_fma_f16 v34, v30, 0x3abb, -v34
	v_mul_f16_e32 v45, 0xb482, v32
	v_sub_f16_e32 v28, v28, v29
	v_add_f16_e32 v50, v57, v53
	v_mul_f16_e32 v32, 0x3b47, v32
	v_add_f16_e32 v34, v34, v41
	v_fmamk_f16 v29, v30, 0xbbad, v45
	v_fma_f16 v41, v30, 0xbbad, -v45
	v_add_f16_e32 v26, v26, v27
	v_mul_f16_e32 v27, 0xb482, v28
	v_add_f16_e32 v46, v48, v50
	v_add_f16_e32 v29, v29, v33
	v_fmamk_f16 v33, v30, 0x36a6, v32
	v_fma_f16 v30, v30, 0x36a6, -v32
	v_add_f16_e32 v32, v41, v37
	v_fmamk_f16 v37, v26, 0xbbad, v27
	v_mul_f16_e32 v41, 0x3853, v28
	v_add_f16_e32 v49, v49, v54
	v_mul_u32_u24_e32 v23, 0xb0, v23
	v_add_f16_e32 v42, v42, v46
	v_add_f16_e32 v33, v33, v36
	;; [unrolled: 1-line block ×3, first 2 shown]
	v_fma_f16 v27, v26, 0xbbad, -v27
	v_add_f16_e32 v30, v37, v40
	v_fmamk_f16 v36, v26, 0x3abb, v41
	v_mul_f16_e32 v37, 0xba0c, v28
	v_add_f16_e32 v39, v39, v49
	v_or_b32_e32 v22, v23, v22
	v_add_f16_e32 v27, v27, v31
	v_add_f16_e32 v31, v36, v42
	v_fmamk_f16 v36, v26, 0xb93d, v37
	v_fma_f16 v37, v26, 0xb93d, -v37
	v_mul_f16_e32 v23, 0x3b47, v28
	v_add_f16_e32 v39, v44, v39
	v_mul_f16_e32 v28, 0xbbeb, v28
	v_lshlrev_b32_e32 v22, 1, v22
	v_add_f16_e32 v34, v37, v34
	v_fmamk_f16 v37, v26, 0x36a6, v23
	v_add_f16_e32 v35, v35, v43
	v_fma_f16 v40, v26, 0x3abb, -v41
	v_add_f16_e32 v36, v36, v39
	v_fma_f16 v23, v26, 0x36a6, -v23
	v_fmamk_f16 v39, v26, 0xb08e, v28
	v_fma_f16 v26, v26, 0xb08e, -v28
	v_add3_u32 v22, 0, v22, v25
	v_add_f16_e32 v25, v37, v29
	v_add_f16_e32 v35, v40, v35
	;; [unrolled: 1-line block ×5, first 2 shown]
	ds_write_b16 v22, v38
	ds_write_b16 v22, v30 offset:32
	ds_write_b16 v22, v31 offset:64
	;; [unrolled: 1-line block ×10, first 2 shown]
.LBB0_21:
	s_or_b32 exec_lo, exec_lo, s1
	s_waitcnt lgkmcnt(0)
	s_barrier
	buffer_gl0_inv
	s_and_saveexec_b32 s0, vcc_lo
	s_cbranch_execz .LBB0_23
; %bb.22:
	v_lshlrev_b32_e32 v26, 2, v8
	v_mov_b32_e32 v27, 0
	v_mul_hi_u32 v31, 0xba2e8ba3, v7
	v_mul_lo_u32 v8, s5, v3
	v_mul_lo_u32 v30, s4, v4
	v_mad_u64_u32 v[3:4], null, s4, v3, 0
	v_lshlrev_b64 v[22:23], 2, v[26:27]
	v_lshlrev_b32_e32 v26, 2, v7
	v_add_nc_u32_e32 v32, 0x58, v7
	v_lshlrev_b64 v[26:27], 2, v[26:27]
	v_add_co_u32 v22, vcc_lo, s12, v22
	v_add_co_ci_u32_e32 v23, vcc_lo, s13, v23, vcc_lo
	v_add3_u32 v4, v4, v30, v8
	v_add_co_u32 v26, vcc_lo, s12, v26
	global_load_dwordx4 v[22:25], v[22:23], off offset:696
	v_add_co_ci_u32_e32 v27, vcc_lo, s13, v27, vcc_lo
	v_lshlrev_b64 v[3:4], 2, v[3:4]
	global_load_dwordx4 v[26:29], v[26:27], off offset:696
	ds_read_u16 v47, v9
	ds_read_u16 v48, v6
	;; [unrolled: 1-line block ×4, first 2 shown]
	v_lshrrev_b32_e32 v9, 7, v31
	v_mul_hi_u32 v6, 0xba2e8ba3, v32
	ds_read_u16 v51, v5 offset:1584
	ds_read_u16 v52, v5 offset:1408
	;; [unrolled: 1-line block ×5, first 2 shown]
	ds_read_u16 v56, v0
	v_mul_lo_u32 v8, 0xb0, v9
	v_lshlrev_b64 v[0:1], 2, v[1:2]
	v_add_co_u32 v3, vcc_lo, s10, v3
	v_lshrrev_b32_e32 v11, 7, v6
	v_add_co_ci_u32_e32 v4, vcc_lo, s11, v4, vcc_lo
	v_add_co_u32 v57, vcc_lo, v3, v0
	v_sub_nc_u32_e32 v33, v7, v8
	v_mul_lo_u32 v2, 0xb0, v11
	v_add_co_ci_u32_e32 v58, vcc_lo, v4, v1, vcc_lo
	v_add_nc_u32_e32 v34, 0xb0, v33
	v_add_nc_u32_e32 v35, 0x160, v33
	v_mad_u64_u32 v[0:1], null, s2, v33, 0
	v_add_nc_u32_e32 v36, 0x210, v33
	v_mad_u64_u32 v[3:4], null, s2, v34, 0
	v_add_nc_u32_e32 v37, 0x2c0, v33
	v_sub_nc_u32_e32 v2, v32, v2
	v_mad_u64_u32 v[5:6], null, s2, v35, 0
	v_mad_u64_u32 v[7:8], null, s2, v36, 0
	;; [unrolled: 1-line block ×5, first 2 shown]
	v_mov_b32_e32 v2, v4
	v_mov_b32_e32 v4, v6
	;; [unrolled: 1-line block ×4, first 2 shown]
	v_mad_u64_u32 v[31:32], null, s2, v30, 0
	v_mad_u64_u32 v[10:11], null, s3, v34, v[2:3]
	v_add_nc_u32_e32 v44, 0xb0, v30
	v_mad_u64_u32 v[33:34], null, s3, v35, v[4:5]
	v_mad_u64_u32 v[34:35], null, s3, v36, v[6:7]
	;; [unrolled: 1-line block ×3, first 2 shown]
	v_add_nc_u32_e32 v45, 0x160, v30
	v_mad_u64_u32 v[36:37], null, s2, v44, 0
	v_add_nc_u32_e32 v46, 0x210, v30
	v_mov_b32_e32 v2, v32
	v_mov_b32_e32 v4, v10
	v_add_nc_u32_e32 v59, 0x2c0, v30
	v_mad_u64_u32 v[38:39], null, s2, v45, 0
	v_lshlrev_b64 v[0:1], 2, v[0:1]
	v_mov_b32_e32 v6, v33
	v_mad_u64_u32 v[40:41], null, s2, v46, 0
	v_mad_u64_u32 v[32:33], null, s3, v30, v[2:3]
	v_lshlrev_b64 v[3:4], 2, v[3:4]
	v_mad_u64_u32 v[42:43], null, s2, v59, 0
	v_mov_b32_e32 v2, v37
	v_mov_b32_e32 v8, v34
	v_lshlrev_b64 v[5:6], 2, v[5:6]
	v_add_co_u32 v0, vcc_lo, v57, v0
	v_mov_b32_e32 v10, v35
	v_mov_b32_e32 v11, v39
	v_mad_u64_u32 v[34:35], null, s3, v44, v[2:3]
	v_add_co_ci_u32_e32 v1, vcc_lo, v58, v1, vcc_lo
	v_lshlrev_b64 v[7:8], 2, v[7:8]
	v_add_co_u32 v2, vcc_lo, v57, v3
	v_mov_b32_e32 v30, v41
	v_mov_b32_e32 v33, v43
	v_add_co_ci_u32_e32 v3, vcc_lo, v58, v4, vcc_lo
	v_lshlrev_b64 v[9:10], 2, v[9:10]
	v_add_co_u32 v4, vcc_lo, v57, v5
	v_mad_u64_u32 v[43:44], null, s3, v45, v[11:12]
	v_add_co_ci_u32_e32 v5, vcc_lo, v58, v6, vcc_lo
	v_mad_u64_u32 v[44:45], null, s3, v46, v[30:31]
	v_add_co_u32 v6, vcc_lo, v57, v7
	v_mad_u64_u32 v[45:46], null, s3, v59, v[33:34]
	v_add_co_ci_u32_e32 v7, vcc_lo, v58, v8, vcc_lo
	v_add_co_u32 v8, vcc_lo, v57, v9
	v_mov_b32_e32 v37, v34
	v_add_co_ci_u32_e32 v9, vcc_lo, v58, v10, vcc_lo
	v_lshlrev_b64 v[10:11], 2, v[31:32]
	v_mov_b32_e32 v39, v43
	v_lshlrev_b64 v[30:31], 2, v[36:37]
	v_mov_b32_e32 v41, v44
	v_mov_b32_e32 v43, v45
	v_lshlrev_b64 v[32:33], 2, v[38:39]
	v_add_co_u32 v10, vcc_lo, v57, v10
	v_add_co_ci_u32_e32 v11, vcc_lo, v58, v11, vcc_lo
	v_lshlrev_b64 v[34:35], 2, v[40:41]
	v_lshlrev_b64 v[36:37], 2, v[42:43]
	v_add_co_u32 v30, vcc_lo, v57, v30
	v_add_co_ci_u32_e32 v31, vcc_lo, v58, v31, vcc_lo
	v_add_co_u32 v32, vcc_lo, v57, v32
	v_add_co_ci_u32_e32 v33, vcc_lo, v58, v33, vcc_lo
	;; [unrolled: 2-line block ×4, first 2 shown]
	s_waitcnt vmcnt(1)
	v_mul_f16_sdwa v38, v18, v22 dst_sel:DWORD dst_unused:UNUSED_PAD src0_sel:DWORD src1_sel:WORD_1
	v_mul_f16_sdwa v39, v21, v23 dst_sel:DWORD dst_unused:UNUSED_PAD src0_sel:DWORD src1_sel:WORD_1
	;; [unrolled: 1-line block ×4, first 2 shown]
	s_waitcnt lgkmcnt(1)
	v_mul_f16_sdwa v42, v55, v23 dst_sel:DWORD dst_unused:UNUSED_PAD src0_sel:DWORD src1_sel:WORD_1
	v_mul_f16_sdwa v43, v53, v24 dst_sel:DWORD dst_unused:UNUSED_PAD src0_sel:DWORD src1_sel:WORD_1
	;; [unrolled: 1-line block ×4, first 2 shown]
	v_fmac_f16_e32 v38, v49, v22
	v_fmac_f16_e32 v39, v55, v23
	v_fmac_f16_e32 v40, v51, v25
	v_fmac_f16_e32 v41, v53, v24
	v_fma_f16 v21, v21, v23, -v42
	v_fma_f16 v20, v20, v24, -v43
	;; [unrolled: 1-line block ×4, first 2 shown]
	s_waitcnt vmcnt(0)
	v_mul_f16_sdwa v22, v15, v26 dst_sel:DWORD dst_unused:UNUSED_PAD src0_sel:DWORD src1_sel:WORD_1
	v_mul_f16_sdwa v23, v14, v27 dst_sel:DWORD dst_unused:UNUSED_PAD src0_sel:DWORD src1_sel:WORD_1
	v_mul_f16_sdwa v24, v16, v29 dst_sel:DWORD dst_unused:UNUSED_PAD src0_sel:DWORD src1_sel:WORD_1
	v_mul_f16_sdwa v25, v17, v28 dst_sel:DWORD dst_unused:UNUSED_PAD src0_sel:DWORD src1_sel:WORD_1
	v_mul_f16_sdwa v42, v50, v27 dst_sel:DWORD dst_unused:UNUSED_PAD src0_sel:DWORD src1_sel:WORD_1
	v_mul_f16_sdwa v43, v54, v28 dst_sel:DWORD dst_unused:UNUSED_PAD src0_sel:DWORD src1_sel:WORD_1
	v_mul_f16_sdwa v44, v48, v26 dst_sel:DWORD dst_unused:UNUSED_PAD src0_sel:DWORD src1_sel:WORD_1
	v_mul_f16_sdwa v45, v52, v29 dst_sel:DWORD dst_unused:UNUSED_PAD src0_sel:DWORD src1_sel:WORD_1
	v_sub_f16_e32 v46, v38, v39
	v_sub_f16_e32 v53, v18, v19
	v_add_f16_e32 v55, v39, v41
	v_sub_f16_e32 v57, v18, v21
	v_sub_f16_e32 v60, v38, v40
	;; [unrolled: 1-line block ×3, first 2 shown]
	v_add_f16_e32 v64, v38, v40
	v_sub_f16_e32 v65, v21, v18
	v_add_f16_e32 v67, v18, v19
	v_add_f16_e32 v38, v38, v47
	;; [unrolled: 1-line block ×3, first 2 shown]
	v_fmac_f16_e32 v22, v48, v26
	v_fmac_f16_e32 v23, v50, v27
	;; [unrolled: 1-line block ×4, first 2 shown]
	v_fma_f16 v14, v14, v27, -v42
	v_fma_f16 v17, v17, v28, -v43
	v_sub_f16_e32 v49, v40, v41
	v_sub_f16_e32 v58, v19, v20
	;; [unrolled: 1-line block ×3, first 2 shown]
	v_fma_f16 v15, v15, v26, -v44
	v_fma_f16 v16, v16, v29, -v45
	v_add_f16_e32 v59, v21, v20
	v_sub_f16_e32 v51, v21, v20
	v_sub_f16_e32 v61, v39, v41
	v_fma_f16 v27, -0.5, v55, v47
	v_fma_f16 v43, -0.5, v64, v47
	v_add_f16_e32 v38, v39, v38
	v_add_f16_e32 v18, v18, v21
	v_sub_f16_e32 v21, v22, v23
	v_sub_f16_e32 v39, v24, v25
	v_add_f16_e32 v47, v23, v25
	v_add_f16_e32 v50, v14, v17
	;; [unrolled: 1-line block ×5, first 2 shown]
	v_sub_f16_e32 v48, v15, v14
	v_sub_f16_e32 v49, v16, v17
	v_add_f16_e32 v58, v22, v24
	v_add_f16_e32 v63, v15, v16
	v_fma_f16 v29, -0.5, v59, v13
	v_sub_f16_e32 v46, v15, v16
	v_sub_f16_e32 v52, v22, v24
	v_sub_f16_e32 v55, v23, v22
	v_sub_f16_e32 v59, v14, v15
	s_waitcnt lgkmcnt(0)
	v_add_f16_e32 v22, v22, v56
	v_add_f16_e32 v15, v12, v15
	v_sub_f16_e32 v66, v20, v19
	v_add_f16_e32 v38, v41, v38
	v_add_f16_e32 v18, v18, v20
	;; [unrolled: 1-line block ×3, first 2 shown]
	v_fma_f16 v21, -0.5, v47, v56
	v_fma_f16 v41, -0.5, v50, v12
	v_sub_f16_e32 v45, v14, v17
	v_sub_f16_e32 v54, v23, v25
	v_add_f16_e32 v39, v48, v49
	v_fma_f16 v48, -0.5, v58, v56
	v_fma_f16 v12, -0.5, v63, v12
	;; [unrolled: 1-line block ×3, first 2 shown]
	v_add_f16_e32 v22, v23, v22
	v_add_f16_e32 v14, v15, v14
	;; [unrolled: 1-line block ×3, first 2 shown]
	v_fmamk_f16 v19, v46, 0x3b9c, v21
	v_fmamk_f16 v23, v52, 0xbb9c, v41
	v_fmac_f16_e32 v21, 0xbb9c, v46
	v_fmac_f16_e32 v41, 0x3b9c, v52
	v_sub_f16_e32 v57, v25, v24
	v_sub_f16_e32 v62, v17, v16
	v_add_f16_e32 v15, v40, v38
	v_fmamk_f16 v38, v45, 0xbb9c, v48
	v_fmamk_f16 v40, v54, 0x3b9c, v12
	v_fmac_f16_e32 v48, 0x3b9c, v45
	v_fmac_f16_e32 v12, 0xbb9c, v54
	v_add_f16_e32 v44, v65, v66
	v_fmamk_f16 v64, v53, 0x3b9c, v27
	v_fmamk_f16 v65, v60, 0xbb9c, v29
	;; [unrolled: 1-line block ×4, first 2 shown]
	v_fmac_f16_e32 v43, 0x3b9c, v51
	v_fmac_f16_e32 v13, 0xbb9c, v61
	;; [unrolled: 1-line block ×4, first 2 shown]
	v_add_f16_e32 v22, v25, v22
	v_add_f16_e32 v14, v14, v17
	v_fmac_f16_e32 v21, 0xb8b4, v45
	v_fmac_f16_e32 v41, 0x38b4, v54
	v_add_f16_e32 v47, v55, v57
	v_add_f16_e32 v49, v59, v62
	v_fmac_f16_e32 v48, 0xb8b4, v46
	v_fmac_f16_e32 v12, 0x38b4, v52
	;; [unrolled: 1-line block ×14, first 2 shown]
	v_add_f16_e32 v17, v24, v22
	v_add_f16_e32 v14, v16, v14
	v_fmac_f16_e32 v21, 0x34f2, v20
	v_fmac_f16_e32 v41, 0x34f2, v39
	;; [unrolled: 1-line block ×16, first 2 shown]
	v_pack_b32_f16 v14, v14, v17
	v_pack_b32_f16 v20, v41, v21
	;; [unrolled: 1-line block ×10, first 2 shown]
	global_store_dword v[0:1], v14, off
	global_store_dword v[2:3], v20, off
	global_store_dword v[4:5], v12, off
	global_store_dword v[6:7], v21, off
	global_store_dword v[8:9], v19, off
	global_store_dword v[10:11], v15, off
	global_store_dword v[30:31], v16, off
	global_store_dword v[32:33], v13, off
	global_store_dword v[34:35], v17, off
	global_store_dword v[36:37], v18, off
.LBB0_23:
	s_endpgm
	.section	.rodata,"a",@progbits
	.p2align	6, 0x0
	.amdhsa_kernel fft_rtc_fwd_len880_factors_2_2_2_2_11_5_wgs_176_tpt_88_halfLds_half_op_CI_CI_sbrr_dirReg
		.amdhsa_group_segment_fixed_size 0
		.amdhsa_private_segment_fixed_size 0
		.amdhsa_kernarg_size 104
		.amdhsa_user_sgpr_count 6
		.amdhsa_user_sgpr_private_segment_buffer 1
		.amdhsa_user_sgpr_dispatch_ptr 0
		.amdhsa_user_sgpr_queue_ptr 0
		.amdhsa_user_sgpr_kernarg_segment_ptr 1
		.amdhsa_user_sgpr_dispatch_id 0
		.amdhsa_user_sgpr_flat_scratch_init 0
		.amdhsa_user_sgpr_private_segment_size 0
		.amdhsa_wavefront_size32 1
		.amdhsa_uses_dynamic_stack 0
		.amdhsa_system_sgpr_private_segment_wavefront_offset 0
		.amdhsa_system_sgpr_workgroup_id_x 1
		.amdhsa_system_sgpr_workgroup_id_y 0
		.amdhsa_system_sgpr_workgroup_id_z 0
		.amdhsa_system_sgpr_workgroup_info 0
		.amdhsa_system_vgpr_workitem_id 0
		.amdhsa_next_free_vgpr 68
		.amdhsa_next_free_sgpr 31
		.amdhsa_reserve_vcc 1
		.amdhsa_reserve_flat_scratch 0
		.amdhsa_float_round_mode_32 0
		.amdhsa_float_round_mode_16_64 0
		.amdhsa_float_denorm_mode_32 3
		.amdhsa_float_denorm_mode_16_64 3
		.amdhsa_dx10_clamp 1
		.amdhsa_ieee_mode 1
		.amdhsa_fp16_overflow 0
		.amdhsa_workgroup_processor_mode 1
		.amdhsa_memory_ordered 1
		.amdhsa_forward_progress 0
		.amdhsa_shared_vgpr_count 0
		.amdhsa_exception_fp_ieee_invalid_op 0
		.amdhsa_exception_fp_denorm_src 0
		.amdhsa_exception_fp_ieee_div_zero 0
		.amdhsa_exception_fp_ieee_overflow 0
		.amdhsa_exception_fp_ieee_underflow 0
		.amdhsa_exception_fp_ieee_inexact 0
		.amdhsa_exception_int_div_zero 0
	.end_amdhsa_kernel
	.text
.Lfunc_end0:
	.size	fft_rtc_fwd_len880_factors_2_2_2_2_11_5_wgs_176_tpt_88_halfLds_half_op_CI_CI_sbrr_dirReg, .Lfunc_end0-fft_rtc_fwd_len880_factors_2_2_2_2_11_5_wgs_176_tpt_88_halfLds_half_op_CI_CI_sbrr_dirReg
                                        ; -- End function
	.section	.AMDGPU.csdata,"",@progbits
; Kernel info:
; codeLenInByte = 9584
; NumSgprs: 33
; NumVgprs: 68
; ScratchSize: 0
; MemoryBound: 0
; FloatMode: 240
; IeeeMode: 1
; LDSByteSize: 0 bytes/workgroup (compile time only)
; SGPRBlocks: 4
; VGPRBlocks: 8
; NumSGPRsForWavesPerEU: 33
; NumVGPRsForWavesPerEU: 68
; Occupancy: 12
; WaveLimiterHint : 1
; COMPUTE_PGM_RSRC2:SCRATCH_EN: 0
; COMPUTE_PGM_RSRC2:USER_SGPR: 6
; COMPUTE_PGM_RSRC2:TRAP_HANDLER: 0
; COMPUTE_PGM_RSRC2:TGID_X_EN: 1
; COMPUTE_PGM_RSRC2:TGID_Y_EN: 0
; COMPUTE_PGM_RSRC2:TGID_Z_EN: 0
; COMPUTE_PGM_RSRC2:TIDIG_COMP_CNT: 0
	.text
	.p2alignl 6, 3214868480
	.fill 48, 4, 3214868480
	.type	__hip_cuid_e080af852c036ccd,@object ; @__hip_cuid_e080af852c036ccd
	.section	.bss,"aw",@nobits
	.globl	__hip_cuid_e080af852c036ccd
__hip_cuid_e080af852c036ccd:
	.byte	0                               ; 0x0
	.size	__hip_cuid_e080af852c036ccd, 1

	.ident	"AMD clang version 19.0.0git (https://github.com/RadeonOpenCompute/llvm-project roc-6.4.0 25133 c7fe45cf4b819c5991fe208aaa96edf142730f1d)"
	.section	".note.GNU-stack","",@progbits
	.addrsig
	.addrsig_sym __hip_cuid_e080af852c036ccd
	.amdgpu_metadata
---
amdhsa.kernels:
  - .args:
      - .actual_access:  read_only
        .address_space:  global
        .offset:         0
        .size:           8
        .value_kind:     global_buffer
      - .offset:         8
        .size:           8
        .value_kind:     by_value
      - .actual_access:  read_only
        .address_space:  global
        .offset:         16
        .size:           8
        .value_kind:     global_buffer
      - .actual_access:  read_only
        .address_space:  global
        .offset:         24
        .size:           8
        .value_kind:     global_buffer
      - .actual_access:  read_only
        .address_space:  global
        .offset:         32
        .size:           8
        .value_kind:     global_buffer
      - .offset:         40
        .size:           8
        .value_kind:     by_value
      - .actual_access:  read_only
        .address_space:  global
        .offset:         48
        .size:           8
        .value_kind:     global_buffer
      - .actual_access:  read_only
        .address_space:  global
        .offset:         56
        .size:           8
        .value_kind:     global_buffer
      - .offset:         64
        .size:           4
        .value_kind:     by_value
      - .actual_access:  read_only
        .address_space:  global
        .offset:         72
        .size:           8
        .value_kind:     global_buffer
      - .actual_access:  read_only
        .address_space:  global
        .offset:         80
        .size:           8
        .value_kind:     global_buffer
      - .actual_access:  read_only
        .address_space:  global
        .offset:         88
        .size:           8
        .value_kind:     global_buffer
      - .actual_access:  write_only
        .address_space:  global
        .offset:         96
        .size:           8
        .value_kind:     global_buffer
    .group_segment_fixed_size: 0
    .kernarg_segment_align: 8
    .kernarg_segment_size: 104
    .language:       OpenCL C
    .language_version:
      - 2
      - 0
    .max_flat_workgroup_size: 176
    .name:           fft_rtc_fwd_len880_factors_2_2_2_2_11_5_wgs_176_tpt_88_halfLds_half_op_CI_CI_sbrr_dirReg
    .private_segment_fixed_size: 0
    .sgpr_count:     33
    .sgpr_spill_count: 0
    .symbol:         fft_rtc_fwd_len880_factors_2_2_2_2_11_5_wgs_176_tpt_88_halfLds_half_op_CI_CI_sbrr_dirReg.kd
    .uniform_work_group_size: 1
    .uses_dynamic_stack: false
    .vgpr_count:     68
    .vgpr_spill_count: 0
    .wavefront_size: 32
    .workgroup_processor_mode: 1
amdhsa.target:   amdgcn-amd-amdhsa--gfx1030
amdhsa.version:
  - 1
  - 2
...

	.end_amdgpu_metadata
